;; amdgpu-corpus repo=ROCm/rocFFT kind=compiled arch=gfx1201 opt=O3
	.text
	.amdgcn_target "amdgcn-amd-amdhsa--gfx1201"
	.amdhsa_code_object_version 6
	.protected	fft_rtc_fwd_len1848_factors_3_11_7_4_2_wgs_231_tpt_231_halfLds_sp_op_CI_CI_unitstride_sbrr_dirReg ; -- Begin function fft_rtc_fwd_len1848_factors_3_11_7_4_2_wgs_231_tpt_231_halfLds_sp_op_CI_CI_unitstride_sbrr_dirReg
	.globl	fft_rtc_fwd_len1848_factors_3_11_7_4_2_wgs_231_tpt_231_halfLds_sp_op_CI_CI_unitstride_sbrr_dirReg
	.p2align	8
	.type	fft_rtc_fwd_len1848_factors_3_11_7_4_2_wgs_231_tpt_231_halfLds_sp_op_CI_CI_unitstride_sbrr_dirReg,@function
fft_rtc_fwd_len1848_factors_3_11_7_4_2_wgs_231_tpt_231_halfLds_sp_op_CI_CI_unitstride_sbrr_dirReg: ; @fft_rtc_fwd_len1848_factors_3_11_7_4_2_wgs_231_tpt_231_halfLds_sp_op_CI_CI_unitstride_sbrr_dirReg
; %bb.0:
	s_clause 0x2
	s_load_b128 s[8:11], s[0:1], 0x0
	s_load_b128 s[4:7], s[0:1], 0x58
	;; [unrolled: 1-line block ×3, first 2 shown]
	v_mul_u32_u24_e32 v1, 0x11c, v0
	v_mov_b32_e32 v3, 0
	v_mov_b32_e32 v7, 0
	;; [unrolled: 1-line block ×3, first 2 shown]
	s_delay_alu instid0(VALU_DEP_4) | instskip(NEXT) | instid1(VALU_DEP_1)
	v_lshrrev_b32_e32 v1, 16, v1
	v_dual_mov_b32 v10, v3 :: v_dual_add_nc_u32 v9, ttmp9, v1
	s_wait_kmcnt 0x0
	v_cmp_lt_u64_e64 s2, s[10:11], 2
	s_delay_alu instid0(VALU_DEP_1)
	s_and_b32 vcc_lo, exec_lo, s2
	s_cbranch_vccnz .LBB0_8
; %bb.1:
	s_load_b64 s[2:3], s[0:1], 0x10
	v_mov_b32_e32 v7, 0
	v_mov_b32_e32 v8, 0
	s_delay_alu instid0(VALU_DEP_2)
	v_mov_b32_e32 v1, v7
	s_add_nc_u64 s[16:17], s[14:15], 8
	s_add_nc_u64 s[18:19], s[12:13], 8
	s_mov_b64 s[20:21], 1
	v_mov_b32_e32 v2, v8
	s_wait_kmcnt 0x0
	s_add_nc_u64 s[22:23], s[2:3], 8
	s_mov_b32 s3, 0
.LBB0_2:                                ; =>This Inner Loop Header: Depth=1
	s_load_b64 s[24:25], s[22:23], 0x0
                                        ; implicit-def: $vgpr5_vgpr6
	s_mov_b32 s2, exec_lo
	s_wait_kmcnt 0x0
	v_or_b32_e32 v4, s25, v10
	s_delay_alu instid0(VALU_DEP_1)
	v_cmpx_ne_u64_e32 0, v[3:4]
	s_wait_alu 0xfffe
	s_xor_b32 s26, exec_lo, s2
	s_cbranch_execz .LBB0_4
; %bb.3:                                ;   in Loop: Header=BB0_2 Depth=1
	s_cvt_f32_u32 s2, s24
	s_cvt_f32_u32 s27, s25
	s_sub_nc_u64 s[30:31], 0, s[24:25]
	s_wait_alu 0xfffe
	s_delay_alu instid0(SALU_CYCLE_1) | instskip(SKIP_1) | instid1(SALU_CYCLE_2)
	s_fmamk_f32 s2, s27, 0x4f800000, s2
	s_wait_alu 0xfffe
	v_s_rcp_f32 s2, s2
	s_delay_alu instid0(TRANS32_DEP_1) | instskip(SKIP_1) | instid1(SALU_CYCLE_2)
	s_mul_f32 s2, s2, 0x5f7ffffc
	s_wait_alu 0xfffe
	s_mul_f32 s27, s2, 0x2f800000
	s_wait_alu 0xfffe
	s_delay_alu instid0(SALU_CYCLE_2) | instskip(SKIP_1) | instid1(SALU_CYCLE_2)
	s_trunc_f32 s27, s27
	s_wait_alu 0xfffe
	s_fmamk_f32 s2, s27, 0xcf800000, s2
	s_cvt_u32_f32 s29, s27
	s_wait_alu 0xfffe
	s_delay_alu instid0(SALU_CYCLE_1) | instskip(SKIP_1) | instid1(SALU_CYCLE_2)
	s_cvt_u32_f32 s28, s2
	s_wait_alu 0xfffe
	s_mul_u64 s[34:35], s[30:31], s[28:29]
	s_wait_alu 0xfffe
	s_mul_hi_u32 s37, s28, s35
	s_mul_i32 s36, s28, s35
	s_mul_hi_u32 s2, s28, s34
	s_mul_i32 s33, s29, s34
	s_wait_alu 0xfffe
	s_add_nc_u64 s[36:37], s[2:3], s[36:37]
	s_mul_hi_u32 s27, s29, s34
	s_mul_hi_u32 s38, s29, s35
	s_add_co_u32 s2, s36, s33
	s_wait_alu 0xfffe
	s_add_co_ci_u32 s2, s37, s27
	s_mul_i32 s34, s29, s35
	s_add_co_ci_u32 s35, s38, 0
	s_wait_alu 0xfffe
	s_add_nc_u64 s[34:35], s[2:3], s[34:35]
	s_wait_alu 0xfffe
	v_add_co_u32 v4, s2, s28, s34
	s_delay_alu instid0(VALU_DEP_1) | instskip(SKIP_1) | instid1(VALU_DEP_1)
	s_cmp_lg_u32 s2, 0
	s_add_co_ci_u32 s29, s29, s35
	v_readfirstlane_b32 s28, v4
	s_wait_alu 0xfffe
	s_delay_alu instid0(VALU_DEP_1)
	s_mul_u64 s[30:31], s[30:31], s[28:29]
	s_wait_alu 0xfffe
	s_mul_hi_u32 s35, s28, s31
	s_mul_i32 s34, s28, s31
	s_mul_hi_u32 s2, s28, s30
	s_mul_i32 s33, s29, s30
	s_wait_alu 0xfffe
	s_add_nc_u64 s[34:35], s[2:3], s[34:35]
	s_mul_hi_u32 s27, s29, s30
	s_mul_hi_u32 s28, s29, s31
	s_wait_alu 0xfffe
	s_add_co_u32 s2, s34, s33
	s_add_co_ci_u32 s2, s35, s27
	s_mul_i32 s30, s29, s31
	s_add_co_ci_u32 s31, s28, 0
	s_wait_alu 0xfffe
	s_add_nc_u64 s[30:31], s[2:3], s[30:31]
	s_wait_alu 0xfffe
	v_add_co_u32 v6, s2, v4, s30
	s_delay_alu instid0(VALU_DEP_1) | instskip(SKIP_1) | instid1(VALU_DEP_1)
	s_cmp_lg_u32 s2, 0
	s_add_co_ci_u32 s2, s29, s31
	v_mul_hi_u32 v15, v9, v6
	s_wait_alu 0xfffe
	v_mad_co_u64_u32 v[4:5], null, v9, s2, 0
	v_mad_co_u64_u32 v[11:12], null, v10, v6, 0
	;; [unrolled: 1-line block ×3, first 2 shown]
	s_delay_alu instid0(VALU_DEP_3) | instskip(SKIP_1) | instid1(VALU_DEP_4)
	v_add_co_u32 v4, vcc_lo, v15, v4
	s_wait_alu 0xfffd
	v_add_co_ci_u32_e32 v5, vcc_lo, 0, v5, vcc_lo
	s_delay_alu instid0(VALU_DEP_2) | instskip(SKIP_1) | instid1(VALU_DEP_2)
	v_add_co_u32 v4, vcc_lo, v4, v11
	s_wait_alu 0xfffd
	v_add_co_ci_u32_e32 v4, vcc_lo, v5, v12, vcc_lo
	s_wait_alu 0xfffd
	v_add_co_ci_u32_e32 v5, vcc_lo, 0, v14, vcc_lo
	s_delay_alu instid0(VALU_DEP_2) | instskip(SKIP_1) | instid1(VALU_DEP_2)
	v_add_co_u32 v11, vcc_lo, v4, v13
	s_wait_alu 0xfffd
	v_add_co_ci_u32_e32 v6, vcc_lo, 0, v5, vcc_lo
	s_delay_alu instid0(VALU_DEP_2) | instskip(SKIP_1) | instid1(VALU_DEP_3)
	v_mul_lo_u32 v12, s25, v11
	v_mad_co_u64_u32 v[4:5], null, s24, v11, 0
	v_mul_lo_u32 v13, s24, v6
	s_delay_alu instid0(VALU_DEP_2) | instskip(NEXT) | instid1(VALU_DEP_2)
	v_sub_co_u32 v4, vcc_lo, v9, v4
	v_add3_u32 v5, v5, v13, v12
	s_delay_alu instid0(VALU_DEP_1) | instskip(SKIP_1) | instid1(VALU_DEP_1)
	v_sub_nc_u32_e32 v12, v10, v5
	s_wait_alu 0xfffd
	v_subrev_co_ci_u32_e64 v12, s2, s25, v12, vcc_lo
	v_add_co_u32 v13, s2, v11, 2
	s_wait_alu 0xf1ff
	v_add_co_ci_u32_e64 v14, s2, 0, v6, s2
	v_sub_co_u32 v15, s2, v4, s24
	v_sub_co_ci_u32_e32 v5, vcc_lo, v10, v5, vcc_lo
	s_wait_alu 0xf1ff
	v_subrev_co_ci_u32_e64 v12, s2, 0, v12, s2
	s_delay_alu instid0(VALU_DEP_3) | instskip(NEXT) | instid1(VALU_DEP_3)
	v_cmp_le_u32_e32 vcc_lo, s24, v15
	v_cmp_eq_u32_e64 s2, s25, v5
	s_wait_alu 0xfffd
	v_cndmask_b32_e64 v15, 0, -1, vcc_lo
	v_cmp_le_u32_e32 vcc_lo, s25, v12
	s_wait_alu 0xfffd
	v_cndmask_b32_e64 v16, 0, -1, vcc_lo
	v_cmp_le_u32_e32 vcc_lo, s24, v4
	;; [unrolled: 3-line block ×3, first 2 shown]
	s_wait_alu 0xfffd
	v_cndmask_b32_e64 v17, 0, -1, vcc_lo
	v_cmp_eq_u32_e32 vcc_lo, s25, v12
	s_wait_alu 0xf1ff
	s_delay_alu instid0(VALU_DEP_2)
	v_cndmask_b32_e64 v4, v17, v4, s2
	s_wait_alu 0xfffd
	v_cndmask_b32_e32 v12, v16, v15, vcc_lo
	v_add_co_u32 v15, vcc_lo, v11, 1
	s_wait_alu 0xfffd
	v_add_co_ci_u32_e32 v16, vcc_lo, 0, v6, vcc_lo
	s_delay_alu instid0(VALU_DEP_3) | instskip(SKIP_1) | instid1(VALU_DEP_2)
	v_cmp_ne_u32_e32 vcc_lo, 0, v12
	s_wait_alu 0xfffd
	v_dual_cndmask_b32 v5, v16, v14 :: v_dual_cndmask_b32 v12, v15, v13
	v_cmp_ne_u32_e32 vcc_lo, 0, v4
	s_wait_alu 0xfffd
	s_delay_alu instid0(VALU_DEP_2)
	v_dual_cndmask_b32 v6, v6, v5 :: v_dual_cndmask_b32 v5, v11, v12
.LBB0_4:                                ;   in Loop: Header=BB0_2 Depth=1
	s_wait_alu 0xfffe
	s_and_not1_saveexec_b32 s2, s26
	s_cbranch_execz .LBB0_6
; %bb.5:                                ;   in Loop: Header=BB0_2 Depth=1
	v_cvt_f32_u32_e32 v4, s24
	s_sub_co_i32 s26, 0, s24
	s_delay_alu instid0(VALU_DEP_1) | instskip(NEXT) | instid1(TRANS32_DEP_1)
	v_rcp_iflag_f32_e32 v4, v4
	v_mul_f32_e32 v4, 0x4f7ffffe, v4
	s_delay_alu instid0(VALU_DEP_1) | instskip(SKIP_1) | instid1(VALU_DEP_1)
	v_cvt_u32_f32_e32 v4, v4
	s_wait_alu 0xfffe
	v_mul_lo_u32 v5, s26, v4
	s_delay_alu instid0(VALU_DEP_1) | instskip(NEXT) | instid1(VALU_DEP_1)
	v_mul_hi_u32 v5, v4, v5
	v_add_nc_u32_e32 v4, v4, v5
	s_delay_alu instid0(VALU_DEP_1) | instskip(NEXT) | instid1(VALU_DEP_1)
	v_mul_hi_u32 v4, v9, v4
	v_mul_lo_u32 v5, v4, s24
	v_add_nc_u32_e32 v6, 1, v4
	s_delay_alu instid0(VALU_DEP_2) | instskip(NEXT) | instid1(VALU_DEP_1)
	v_sub_nc_u32_e32 v5, v9, v5
	v_subrev_nc_u32_e32 v11, s24, v5
	v_cmp_le_u32_e32 vcc_lo, s24, v5
	s_wait_alu 0xfffd
	s_delay_alu instid0(VALU_DEP_2) | instskip(NEXT) | instid1(VALU_DEP_1)
	v_dual_cndmask_b32 v5, v5, v11 :: v_dual_cndmask_b32 v4, v4, v6
	v_cmp_le_u32_e32 vcc_lo, s24, v5
	s_delay_alu instid0(VALU_DEP_2) | instskip(SKIP_1) | instid1(VALU_DEP_1)
	v_add_nc_u32_e32 v6, 1, v4
	s_wait_alu 0xfffd
	v_dual_cndmask_b32 v5, v4, v6 :: v_dual_mov_b32 v6, v3
.LBB0_6:                                ;   in Loop: Header=BB0_2 Depth=1
	s_wait_alu 0xfffe
	s_or_b32 exec_lo, exec_lo, s2
	s_delay_alu instid0(VALU_DEP_1) | instskip(NEXT) | instid1(VALU_DEP_2)
	v_mul_lo_u32 v4, v6, s24
	v_mul_lo_u32 v13, v5, s25
	s_load_b64 s[26:27], s[18:19], 0x0
	v_mad_co_u64_u32 v[11:12], null, v5, s24, 0
	s_load_b64 s[24:25], s[16:17], 0x0
	s_add_nc_u64 s[20:21], s[20:21], 1
	s_add_nc_u64 s[16:17], s[16:17], 8
	s_wait_alu 0xfffe
	v_cmp_ge_u64_e64 s2, s[20:21], s[10:11]
	s_add_nc_u64 s[18:19], s[18:19], 8
	s_add_nc_u64 s[22:23], s[22:23], 8
	v_add3_u32 v4, v12, v13, v4
	v_sub_co_u32 v9, vcc_lo, v9, v11
	s_wait_alu 0xfffd
	s_delay_alu instid0(VALU_DEP_2) | instskip(SKIP_2) | instid1(VALU_DEP_1)
	v_sub_co_ci_u32_e32 v4, vcc_lo, v10, v4, vcc_lo
	s_and_b32 vcc_lo, exec_lo, s2
	s_wait_kmcnt 0x0
	v_mul_lo_u32 v10, s26, v4
	v_mul_lo_u32 v11, s27, v9
	v_mad_co_u64_u32 v[7:8], null, s26, v9, v[7:8]
	v_mul_lo_u32 v4, s24, v4
	v_mul_lo_u32 v12, s25, v9
	v_mad_co_u64_u32 v[1:2], null, s24, v9, v[1:2]
	s_delay_alu instid0(VALU_DEP_4) | instskip(NEXT) | instid1(VALU_DEP_2)
	v_add3_u32 v8, v11, v8, v10
	v_add3_u32 v2, v12, v2, v4
	s_wait_alu 0xfffe
	s_cbranch_vccnz .LBB0_9
; %bb.7:                                ;   in Loop: Header=BB0_2 Depth=1
	v_dual_mov_b32 v10, v6 :: v_dual_mov_b32 v9, v5
	s_branch .LBB0_2
.LBB0_8:
	v_dual_mov_b32 v1, v7 :: v_dual_mov_b32 v2, v8
	v_dual_mov_b32 v5, v9 :: v_dual_mov_b32 v6, v10
.LBB0_9:
	s_load_b64 s[0:1], s[0:1], 0x28
	v_mul_hi_u32 v4, 0x11bb4a5, v0
	s_lshl_b64 s[10:11], s[10:11], 3
                                        ; implicit-def: $vgpr3
	s_wait_alu 0xfffe
	s_add_nc_u64 s[2:3], s[14:15], s[10:11]
	s_wait_kmcnt 0x0
	v_cmp_gt_u64_e32 vcc_lo, s[0:1], v[5:6]
	v_cmp_le_u64_e64 s0, s[0:1], v[5:6]
	s_delay_alu instid0(VALU_DEP_1)
	s_and_saveexec_b32 s1, s0
	s_wait_alu 0xfffe
	s_xor_b32 s0, exec_lo, s1
; %bb.10:
	v_mul_u32_u24_e32 v3, 0xe7, v4
                                        ; implicit-def: $vgpr4
                                        ; implicit-def: $vgpr7_vgpr8
	s_delay_alu instid0(VALU_DEP_1)
	v_sub_nc_u32_e32 v3, v0, v3
                                        ; implicit-def: $vgpr0
; %bb.11:
	s_wait_alu 0xfffe
	s_or_saveexec_b32 s1, s0
	s_load_b64 s[2:3], s[2:3], 0x0
                                        ; implicit-def: $vgpr12
                                        ; implicit-def: $vgpr36
                                        ; implicit-def: $vgpr28
                                        ; implicit-def: $vgpr14
                                        ; implicit-def: $vgpr24
                                        ; implicit-def: $vgpr26
                                        ; implicit-def: $vgpr16
                                        ; implicit-def: $vgpr34
                                        ; implicit-def: $vgpr32
	s_xor_b32 exec_lo, exec_lo, s1
	s_cbranch_execz .LBB0_15
; %bb.12:
	s_add_nc_u64 s[10:11], s[12:13], s[10:11]
	v_lshlrev_b64_e32 v[7:8], 3, v[7:8]
	s_load_b64 s[10:11], s[10:11], 0x0
                                        ; implicit-def: $vgpr31
                                        ; implicit-def: $vgpr33
                                        ; implicit-def: $vgpr15
	s_wait_kmcnt 0x0
	v_mul_lo_u32 v3, s11, v5
	v_mul_lo_u32 v11, s10, v6
	v_mad_co_u64_u32 v[9:10], null, s10, v5, 0
	s_delay_alu instid0(VALU_DEP_1) | instskip(SKIP_1) | instid1(VALU_DEP_2)
	v_add3_u32 v10, v10, v11, v3
	v_mul_u32_u24_e32 v3, 0xe7, v4
	v_lshlrev_b64_e32 v[9:10], 3, v[9:10]
	s_delay_alu instid0(VALU_DEP_2) | instskip(NEXT) | instid1(VALU_DEP_2)
	v_sub_nc_u32_e32 v3, v0, v3
	v_add_co_u32 v0, s0, s4, v9
	s_wait_alu 0xf1ff
	s_delay_alu instid0(VALU_DEP_3) | instskip(NEXT) | instid1(VALU_DEP_3)
	v_add_co_ci_u32_e64 v4, s0, s5, v10, s0
	v_lshlrev_b32_e32 v9, 3, v3
	s_delay_alu instid0(VALU_DEP_3) | instskip(SKIP_1) | instid1(VALU_DEP_3)
	v_add_co_u32 v0, s0, v0, v7
	s_wait_alu 0xf1ff
	v_add_co_ci_u32_e64 v4, s0, v4, v8, s0
	s_mov_b32 s4, exec_lo
	s_delay_alu instid0(VALU_DEP_2) | instskip(SKIP_1) | instid1(VALU_DEP_2)
	v_add_co_u32 v7, s0, v0, v9
	s_wait_alu 0xf1ff
	v_add_co_ci_u32_e64 v8, s0, 0, v4, s0
	s_clause 0x5
	global_load_b64 v[11:12], v[7:8], off
	global_load_b64 v[23:24], v[7:8], off offset:6776
	global_load_b64 v[35:36], v[7:8], off offset:4928
	;; [unrolled: 1-line block ×5, first 2 shown]
	v_cmpx_gt_u32_e32 0x9a, v3
; %bb.13:
	s_clause 0x2
	global_load_b64 v[15:16], v[7:8], off offset:3696
	global_load_b64 v[33:34], v[7:8], off offset:8624
	;; [unrolled: 1-line block ×3, first 2 shown]
; %bb.14:
	s_wait_alu 0xfffe
	s_or_b32 exec_lo, exec_lo, s4
.LBB0_15:
	s_delay_alu instid0(SALU_CYCLE_1)
	s_or_b32 exec_lo, exec_lo, s1
	s_wait_loadcnt 0x1
	v_dual_add_f32 v0, v35, v27 :: v_dual_sub_f32 v7, v36, v28
	v_add_f32_e32 v4, v11, v35
	s_wait_loadcnt 0x0
	v_dual_add_f32 v8, v23, v25 :: v_dual_add_f32 v17, v33, v31
	s_delay_alu instid0(VALU_DEP_3) | instskip(NEXT) | instid1(VALU_DEP_3)
	v_dual_fmac_f32 v11, -0.5, v0 :: v_dual_add_f32 v0, v13, v23
	v_add_f32_e32 v9, v4, v27
	s_delay_alu instid0(VALU_DEP_3) | instskip(SKIP_1) | instid1(VALU_DEP_4)
	v_fmac_f32_e32 v13, -0.5, v8
	v_mad_u32_u24 v4, v3, 12, 0
	v_fmamk_f32 v10, v7, 0x3f5db3d7, v11
	v_dual_fmac_f32 v11, 0xbf5db3d7, v7 :: v_dual_add_f32 v18, v0, v25
	v_dual_sub_f32 v7, v24, v26 :: v_dual_add_f32 v0, v15, v33
	v_dual_fmac_f32 v15, -0.5, v17 :: v_dual_sub_f32 v8, v34, v32
	v_add_nc_u32_e32 v39, 0xad4, v4
	s_delay_alu instid0(VALU_DEP_3)
	v_fmamk_f32 v19, v7, 0x3f5db3d7, v13
	v_fmac_f32_e32 v13, 0xbf5db3d7, v7
	v_dual_add_f32 v21, v0, v31 :: v_dual_add_nc_u32 v38, 0x15a8, v4
	v_fmamk_f32 v22, v8, 0x3f5db3d7, v15
	v_fmac_f32_e32 v15, 0xbf5db3d7, v8
	v_cmp_gt_u32_e64 s0, 0x9a, v3
	ds_store_2addr_b32 v4, v9, v10 offset1:1
	ds_store_b32 v4, v11 offset:8
	ds_store_2addr_b32 v39, v18, v19 offset1:1
	ds_store_b32 v4, v13 offset:2780
	s_and_saveexec_b32 s1, s0
	s_cbranch_execz .LBB0_17
; %bb.16:
	ds_store_2addr_b32 v38, v21, v22 offset1:1
	ds_store_b32 v4, v15 offset:5552
.LBB0_17:
	s_wait_alu 0xfffe
	s_or_b32 exec_lo, exec_lo, s1
	v_cmp_gt_u32_e64 s1, 0xa8, v3
	v_lshlrev_b32_e32 v37, 3, v3
	global_wb scope:SCOPE_SE
	s_wait_dscnt 0x0
	s_wait_kmcnt 0x0
	s_barrier_signal -1
	s_barrier_wait -1
	global_inv scope:SCOPE_SE
                                        ; implicit-def: $vgpr30
                                        ; implicit-def: $vgpr0
	s_and_saveexec_b32 s4, s1
	s_cbranch_execz .LBB0_19
; %bb.18:
	v_sub_nc_u32_e32 v0, v4, v37
	s_delay_alu instid0(VALU_DEP_1)
	v_add_nc_u32_e32 v7, 0x400, v0
	v_add_nc_u32_e32 v8, 0xa00, v0
	;; [unrolled: 1-line block ×4, first 2 shown]
	ds_load_2addr_b32 v[17:18], v7 offset0:80 offset1:248
	ds_load_2addr_b32 v[19:20], v8 offset0:32 offset1:200
	;; [unrolled: 1-line block ×3, first 2 shown]
	ds_load_2addr_b32 v[9:10], v0 offset1:168
	ds_load_b32 v0, v0 offset:6720
	ds_load_2addr_b32 v[21:22], v11 offset0:48 offset1:216
	s_wait_dscnt 0x5
	v_mov_b32_e32 v11, v17
	s_wait_dscnt 0x4
	v_mov_b32_e32 v13, v20
	;; [unrolled: 2-line block ×3, first 2 shown]
.LBB0_19:
	s_wait_alu 0xfffe
	s_or_b32 exec_lo, exec_lo, s4
	v_dual_add_f32 v8, v12, v36 :: v_dual_sub_f32 v17, v35, v27
	v_add_f32_e32 v7, v36, v28
	v_dual_add_f32 v20, v24, v26 :: v_dual_add_f32 v27, v34, v32
	v_add_f32_e32 v24, v14, v24
	global_wb scope:SCOPE_SE
	s_wait_dscnt 0x0
	v_dual_fmac_f32 v12, -0.5, v7 :: v_dual_add_f32 v7, v8, v28
	v_fmac_f32_e32 v14, -0.5, v20
	v_add_f32_e32 v20, v16, v34
	v_fmac_f32_e32 v16, -0.5, v27
	s_delay_alu instid0(VALU_DEP_4)
	v_fmamk_f32 v8, v17, 0xbf5db3d7, v12
	v_fmac_f32_e32 v12, 0x3f5db3d7, v17
	v_sub_f32_e32 v17, v23, v25
	v_dual_sub_f32 v25, v33, v31 :: v_dual_add_f32 v26, v24, v26
	s_barrier_signal -1
	s_barrier_wait -1
	s_delay_alu instid0(VALU_DEP_2)
	v_fmamk_f32 v23, v17, 0xbf5db3d7, v14
	v_dual_add_f32 v27, v20, v32 :: v_dual_fmac_f32 v14, 0x3f5db3d7, v17
	v_fmamk_f32 v28, v25, 0xbf5db3d7, v16
	v_fmac_f32_e32 v16, 0x3f5db3d7, v25
	global_inv scope:SCOPE_SE
	ds_store_2addr_b32 v4, v7, v8 offset1:1
	ds_store_b32 v4, v12 offset:8
	ds_store_2addr_b32 v39, v26, v23 offset1:1
	ds_store_b32 v4, v14 offset:2780
	s_and_saveexec_b32 s4, s0
	s_cbranch_execz .LBB0_21
; %bb.20:
	ds_store_2addr_b32 v38, v27, v28 offset1:1
	ds_store_b32 v4, v16 offset:5552
.LBB0_21:
	s_wait_alu 0xfffe
	s_or_b32 exec_lo, exec_lo, s4
	global_wb scope:SCOPE_SE
	s_wait_dscnt 0x0
	s_barrier_signal -1
	s_barrier_wait -1
	global_inv scope:SCOPE_SE
                                        ; implicit-def: $vgpr17
                                        ; implicit-def: $vgpr45
	s_and_saveexec_b32 s0, s1
	s_cbranch_execz .LBB0_23
; %bb.22:
	v_sub_nc_u32_e32 v4, v4, v37
	s_delay_alu instid0(VALU_DEP_1)
	v_add_nc_u32_e32 v7, 0x1400, v4
	v_add_nc_u32_e32 v8, 0xa00, v4
	;; [unrolled: 1-line block ×4, first 2 shown]
	ds_load_2addr_b32 v[16:17], v7 offset0:64 offset1:232
	ds_load_2addr_b32 v[23:24], v8 offset0:32 offset1:200
	;; [unrolled: 1-line block ×3, first 2 shown]
	ds_load_2addr_b32 v[7:8], v4 offset1:168
	ds_load_b32 v45, v4 offset:6720
	ds_load_2addr_b32 v[27:28], v14 offset0:48 offset1:216
	s_wait_dscnt 0x4
	v_mov_b32_e32 v14, v24
	s_wait_dscnt 0x3
	v_mov_b32_e32 v12, v25
.LBB0_23:
	s_wait_alu 0xfffe
	s_or_b32 exec_lo, exec_lo, s0
	v_and_b32_e32 v20, 0xff, v3
	s_delay_alu instid0(VALU_DEP_1) | instskip(NEXT) | instid1(VALU_DEP_1)
	v_mul_lo_u16 v4, 0xab, v20
	v_lshrrev_b16 v4, 9, v4
	s_delay_alu instid0(VALU_DEP_1) | instskip(NEXT) | instid1(VALU_DEP_1)
	v_mul_lo_u16 v24, v4, 3
	v_sub_nc_u16 v24, v3, v24
	s_delay_alu instid0(VALU_DEP_1) | instskip(NEXT) | instid1(VALU_DEP_1)
	v_and_b32_e32 v64, 0xff, v24
	v_mul_u32_u24_e32 v24, 10, v64
	s_delay_alu instid0(VALU_DEP_1)
	v_lshlrev_b32_e32 v24, 3, v24
	s_clause 0x4
	global_load_b128 v[38:41], v24, s[8:9]
	global_load_b128 v[46:49], v24, s[8:9] offset:16
	global_load_b128 v[50:53], v24, s[8:9] offset:32
	;; [unrolled: 1-line block ×4, first 2 shown]
	global_wb scope:SCOPE_SE
	s_wait_loadcnt_dscnt 0x0
	s_barrier_signal -1
	s_barrier_wait -1
	global_inv scope:SCOPE_SE
	v_mul_f32_e32 v42, v8, v39
	v_dual_mul_f32 v36, v11, v41 :: v_dual_mul_f32 v35, v18, v47
	v_mul_f32_e32 v44, v23, v49
	v_dual_mul_f32 v34, v19, v49 :: v_dual_mul_f32 v33, v13, v51
	v_mul_f32_e32 v49, v27, v53
	v_mul_f32_e32 v32, v21, v53
	v_dual_mul_f32 v53, v16, v57 :: v_dual_mul_f32 v24, v30, v59
	v_mul_f32_e32 v37, v10, v39
	v_mul_f32_e32 v39, v12, v41
	;; [unrolled: 1-line block ×5, first 2 shown]
	v_dual_mul_f32 v31, v22, v55 :: v_dual_fmac_f32 v36, v12, v40
	v_dual_mul_f32 v29, v15, v57 :: v_dual_fmac_f32 v24, v17, v58
	;; [unrolled: 1-line block ×4, first 2 shown]
	v_fma_f32 v43, v10, v38, -v42
	v_fma_f32 v42, v11, v40, -v39
	v_fma_f32 v41, v18, v46, -v41
	v_fma_f32 v40, v19, v48, -v44
	v_fma_f32 v15, v15, v56, -v53
	v_fma_f32 v44, v0, v60, -v57
	v_mul_f32_e32 v25, v0, v61
	v_sub_f32_e32 v57, v36, v24
	v_fmac_f32_e32 v31, v28, v54
	v_fmac_f32_e32 v37, v8, v38
	v_fma_f32 v38, v13, v50, -v47
	v_fma_f32 v27, v22, v54, -v51
	v_add_f32_e32 v54, v41, v15
	v_fma_f32 v28, v30, v58, -v55
	v_dual_fmac_f32 v29, v16, v56 :: v_dual_mul_f32 v48, 0x3e903f40, v57
	v_dual_fmac_f32 v33, v14, v50 :: v_dual_add_f32 v50, v43, v44
	v_dual_mul_f32 v30, 0xbf4178ce, v57 :: v_dual_fmac_f32 v25, v45, v60
	v_sub_f32_e32 v58, v34, v31
	v_fmac_f32_e32 v35, v26, v46
	v_fma_f32 v39, v21, v52, -v49
	s_delay_alu instid0(VALU_DEP_4) | instskip(NEXT) | instid1(VALU_DEP_4)
	v_sub_f32_e32 v56, v37, v25
	v_dual_mul_f32 v16, 0x3f7d64f0, v58 :: v_dual_add_f32 v53, v42, v28
	v_mul_f32_e32 v62, 0x3f7d64f0, v57
	v_dual_sub_f32 v60, v35, v29 :: v_dual_add_f32 v55, v40, v27
	s_delay_alu instid0(VALU_DEP_1) | instskip(SKIP_3) | instid1(VALU_DEP_1)
	v_dual_add_f32 v47, v38, v39 :: v_dual_mul_f32 v18, 0x3e903f40, v60
	v_mul_f32_e32 v14, 0xbf7d64f0, v60
	v_fmamk_f32 v65, v53, 0xbf27a4f4, v30
	v_mul_f32_e32 v45, 0xbf68dda4, v56
	v_fmamk_f32 v10, v50, 0x3ed4b147, v45
	s_delay_alu instid0(VALU_DEP_1) | instskip(NEXT) | instid1(VALU_DEP_1)
	v_dual_mul_f32 v19, 0xbf0a6770, v56 :: v_dual_add_f32 v10, v9, v10
	v_dual_sub_f32 v59, v33, v32 :: v_dual_fmamk_f32 v8, v50, 0x3f575c64, v19
	v_mul_f32_e32 v63, 0xbf4178ce, v56
	v_mul_f32_e32 v17, 0xbf68dda4, v57
	s_delay_alu instid0(VALU_DEP_3) | instskip(SKIP_1) | instid1(VALU_DEP_4)
	v_dual_mul_f32 v51, 0xbe903f40, v58 :: v_dual_mul_f32 v12, 0xbe903f40, v59
	v_mul_f32_e32 v22, 0xbf4178ce, v59
	v_fmamk_f32 v23, v50, 0xbf27a4f4, v63
	s_delay_alu instid0(VALU_DEP_3)
	v_dual_fmamk_f32 v66, v53, 0xbf75a155, v48 :: v_dual_fmamk_f32 v75, v55, 0xbf75a155, v51
	v_add_f32_e32 v8, v9, v8
	v_fmamk_f32 v26, v53, 0x3ed4b147, v17
	v_mul_f32_e32 v13, 0xbf4178ce, v58
	v_mul_f32_e32 v52, 0x3f68dda4, v59
	v_fmamk_f32 v67, v53, 0xbe11bafb, v62
	v_fmamk_f32 v76, v47, 0xbf75a155, v12
	;; [unrolled: 1-line block ×3, first 2 shown]
	v_add_f32_e32 v8, v26, v8
	v_fmamk_f32 v72, v55, 0xbf27a4f4, v13
	v_dual_add_f32 v10, v65, v10 :: v_dual_mul_f32 v49, 0xbf7d64f0, v56
	v_dual_fmamk_f32 v26, v47, 0xbf27a4f4, v22 :: v_dual_add_f32 v23, v9, v23
	v_fmamk_f32 v68, v54, 0xbe11bafb, v14
	v_mul_f32_e32 v0, 0x3f0a6770, v59
	s_delay_alu instid0(VALU_DEP_4) | instskip(NEXT) | instid1(VALU_DEP_4)
	v_dual_add_f32 v10, v69, v10 :: v_dual_fmamk_f32 v65, v47, 0x3ed4b147, v52
	v_add_f32_e32 v23, v67, v23
	s_delay_alu instid0(VALU_DEP_4) | instskip(SKIP_3) | instid1(VALU_DEP_4)
	v_dual_mul_f32 v21, 0xbf0a6770, v58 :: v_dual_add_f32 v8, v68, v8
	v_fmamk_f32 v11, v50, 0xbe11bafb, v49
	v_fmamk_f32 v73, v55, 0xbe11bafb, v16
	v_mul_f32_e32 v61, 0xbf0a6770, v60
	v_dual_fmamk_f32 v77, v47, 0x3f575c64, v0 :: v_dual_add_f32 v8, v72, v8
	s_delay_alu instid0(VALU_DEP_4) | instskip(NEXT) | instid1(VALU_DEP_3)
	v_dual_mul_f32 v46, 0x3f68dda4, v60 :: v_dual_add_f32 v11, v9, v11
	v_dual_add_f32 v10, v73, v10 :: v_dual_fmamk_f32 v71, v54, 0x3f575c64, v61
	s_delay_alu instid0(VALU_DEP_1) | instskip(NEXT) | instid1(VALU_DEP_2)
	v_dual_add_f32 v11, v66, v11 :: v_dual_add_f32 v10, v77, v10
	v_dual_fmamk_f32 v70, v54, 0x3ed4b147, v46 :: v_dual_add_f32 v23, v71, v23
	s_delay_alu instid0(VALU_DEP_1) | instskip(NEXT) | instid1(VALU_DEP_2)
	v_dual_fmamk_f32 v74, v55, 0x3f575c64, v21 :: v_dual_add_f32 v11, v70, v11
	v_dual_add_f32 v66, v75, v23 :: v_dual_and_b32 v23, 0xffff, v4
	s_delay_alu instid0(VALU_DEP_2) | instskip(NEXT) | instid1(VALU_DEP_1)
	v_dual_add_f32 v11, v74, v11 :: v_dual_add_f32 v8, v76, v8
	v_dual_add_f32 v4, v65, v66 :: v_dual_add_f32 v11, v26, v11
	v_lshlrev_b32_e32 v26, 2, v64
	s_and_saveexec_b32 s0, s1
	s_cbranch_execz .LBB0_25
; %bb.24:
	v_dual_mul_f32 v67, 0xbf27a4f4, v50 :: v_dual_mul_f32 v76, 0xbf27a4f4, v55
	v_mul_f32_e32 v56, 0xbe903f40, v56
	v_dual_mul_f32 v64, 0x3f575c64, v50 :: v_dual_mul_f32 v79, 0x3f575c64, v55
	s_delay_alu instid0(VALU_DEP_3) | instskip(NEXT) | instid1(VALU_DEP_3)
	v_sub_f32_e32 v63, v67, v63
	v_dual_mul_f32 v81, 0xbf75a155, v47 :: v_dual_fmamk_f32 v78, v50, 0xbf75a155, v56
	v_mul_f32_e32 v69, 0xbf27a4f4, v53
	v_dual_mul_f32 v65, 0x3ed4b147, v50 :: v_dual_mul_f32 v68, 0x3ed4b147, v53
	v_dual_mul_f32 v66, 0xbe11bafb, v50 :: v_dual_mul_f32 v71, 0xbe11bafb, v53
	s_delay_alu instid0(VALU_DEP_4) | instskip(SKIP_3) | instid1(VALU_DEP_4)
	v_dual_add_f32 v78, v9, v78 :: v_dual_mul_f32 v57, 0x3f0a6770, v57
	v_mul_f32_e32 v75, 0x3f575c64, v54
	v_fma_f32 v50, 0xbf75a155, v50, -v56
	v_dual_mul_f32 v70, 0xbf75a155, v53 :: v_dual_mul_f32 v73, 0xbf75a155, v54
	v_fmamk_f32 v82, v53, 0x3f575c64, v57
	v_mul_f32_e32 v60, 0xbf4178ce, v60
	s_delay_alu instid0(VALU_DEP_4) | instskip(SKIP_1) | instid1(VALU_DEP_4)
	v_dual_add_f32 v50, v9, v50 :: v_dual_mul_f32 v59, 0xbf7d64f0, v59
	v_dual_mul_f32 v80, 0xbf75a155, v55 :: v_dual_sub_f32 v49, v66, v49
	v_add_f32_e32 v78, v82, v78
	v_fma_f32 v53, 0x3f575c64, v53, -v57
	s_delay_alu instid0(VALU_DEP_3) | instskip(SKIP_1) | instid1(VALU_DEP_3)
	v_dual_mul_f32 v58, 0x3f68dda4, v58 :: v_dual_sub_f32 v51, v80, v51
	v_dual_sub_f32 v19, v64, v19 :: v_dual_mul_f32 v72, 0xbe11bafb, v54
	v_dual_mul_f32 v77, 0xbe11bafb, v55 :: v_dual_add_f32 v50, v53, v50
	v_fma_f32 v53, 0xbf27a4f4, v54, -v60
	v_dual_mul_f32 v74, 0x3ed4b147, v54 :: v_dual_mul_f32 v57, 0x3ed4b147, v47
	v_sub_f32_e32 v17, v68, v17
	v_add_f32_e32 v49, v9, v49
	s_delay_alu instid0(VALU_DEP_4) | instskip(SKIP_4) | instid1(VALU_DEP_4)
	v_add_f32_e32 v50, v53, v50
	v_fma_f32 v53, 0x3ed4b147, v55, -v58
	v_sub_f32_e32 v48, v70, v48
	v_dual_sub_f32 v46, v74, v46 :: v_dual_sub_f32 v13, v76, v13
	v_sub_f32_e32 v14, v72, v14
	v_add_f32_e32 v50, v53, v50
	v_add_f32_e32 v53, v9, v43
	v_dual_mul_f32 v83, 0xbf27a4f4, v47 :: v_dual_fmamk_f32 v82, v54, 0xbf27a4f4, v60
	v_mul_f32_e32 v56, 0x3f575c64, v47
	v_fmamk_f32 v54, v55, 0x3ed4b147, v58
	v_fmamk_f32 v55, v47, 0xbe11bafb, v59
	v_fma_f32 v47, 0xbe11bafb, v47, -v59
	v_add_f32_e32 v78, v82, v78
	v_add_f32_e32 v60, v9, v63
	v_add_f32_e32 v53, v53, v42
	v_sub_f32_e32 v62, v71, v62
	v_add_f32_e32 v47, v47, v50
	v_dual_add_f32 v54, v54, v78 :: v_dual_sub_f32 v45, v65, v45
	v_add_f32_e32 v48, v48, v49
	s_delay_alu instid0(VALU_DEP_4)
	v_add_f32_e32 v58, v62, v60
	v_sub_f32_e32 v60, v75, v61
	v_sub_f32_e32 v52, v57, v52
	v_add_f32_e32 v45, v9, v45
	v_add_f32_e32 v9, v9, v19
	v_sub_f32_e32 v12, v81, v12
	v_add_f32_e32 v58, v60, v58
	v_sub_f32_e32 v16, v77, v16
	s_delay_alu instid0(VALU_DEP_4) | instskip(SKIP_1) | instid1(VALU_DEP_4)
	v_dual_sub_f32 v0, v56, v0 :: v_dual_add_f32 v9, v17, v9
	v_sub_f32_e32 v30, v69, v30
	v_dual_add_f32 v50, v51, v58 :: v_dual_add_f32 v51, v53, v41
	v_sub_f32_e32 v17, v79, v21
	s_delay_alu instid0(VALU_DEP_4) | instskip(NEXT) | instid1(VALU_DEP_3)
	v_add_f32_e32 v9, v14, v9
	v_dual_add_f32 v30, v30, v45 :: v_dual_add_f32 v49, v51, v40
	s_delay_alu instid0(VALU_DEP_2) | instskip(SKIP_1) | instid1(VALU_DEP_3)
	v_add_f32_e32 v9, v13, v9
	v_sub_f32_e32 v18, v73, v18
	v_add_f32_e32 v19, v49, v38
	s_delay_alu instid0(VALU_DEP_3) | instskip(NEXT) | instid1(VALU_DEP_2)
	v_add_f32_e32 v9, v12, v9
	v_add_f32_e32 v19, v19, v39
	s_delay_alu instid0(VALU_DEP_1) | instskip(NEXT) | instid1(VALU_DEP_1)
	v_dual_add_f32 v19, v19, v27 :: v_dual_add_f32 v46, v46, v48
	v_dual_add_f32 v14, v17, v46 :: v_dual_add_f32 v17, v19, v15
	v_sub_f32_e32 v19, v83, v22
	s_delay_alu instid0(VALU_DEP_2) | instskip(SKIP_1) | instid1(VALU_DEP_3)
	v_dual_add_f32 v18, v18, v30 :: v_dual_add_f32 v13, v17, v28
	v_mul_u32_u24_e32 v17, 0x84, v23
	v_add_f32_e32 v14, v19, v14
	s_delay_alu instid0(VALU_DEP_3) | instskip(NEXT) | instid1(VALU_DEP_3)
	v_add_f32_e32 v12, v13, v44
	v_add3_u32 v13, 0, v17, v26
	v_add_f32_e32 v17, v55, v54
	v_add_f32_e32 v16, v16, v18
	s_delay_alu instid0(VALU_DEP_1)
	v_add_f32_e32 v0, v0, v16
	v_add_f32_e32 v16, v52, v50
	ds_store_2addr_b32 v13, v12, v9 offset1:3
	ds_store_2addr_b32 v13, v0, v14 offset0:6 offset1:9
	ds_store_2addr_b32 v13, v16, v47 offset0:12 offset1:15
	;; [unrolled: 1-line block ×4, first 2 shown]
	ds_store_b32 v13, v8 offset:120
.LBB0_25:
	s_wait_alu 0xfffe
	s_or_b32 exec_lo, exec_lo, s0
	v_lshl_add_u32 v0, v3, 2, 0
	global_wb scope:SCOPE_SE
	s_wait_dscnt 0x0
	s_barrier_signal -1
	s_barrier_wait -1
	global_inv scope:SCOPE_SE
	ds_load_b32 v9, v0
	ds_load_b32 v22, v0 offset:1056
	ds_load_b32 v21, v0 offset:2112
	;; [unrolled: 1-line block ×6, first 2 shown]
	v_cmp_gt_u32_e64 s0, 33, v3
                                        ; implicit-def: $vgpr13
                                        ; implicit-def: $vgpr12
                                        ; implicit-def: $vgpr14
	s_delay_alu instid0(VALU_DEP_1)
	s_and_saveexec_b32 s4, s0
	s_cbranch_execz .LBB0_27
; %bb.26:
	ds_load_b32 v4, v0 offset:924
	ds_load_b32 v11, v0 offset:1980
	;; [unrolled: 1-line block ×7, first 2 shown]
.LBB0_27:
	s_wait_alu 0xfffe
	s_or_b32 exec_lo, exec_lo, s4
	v_dual_sub_f32 v46, v43, v44 :: v_dual_sub_f32 v41, v41, v15
	v_dual_add_f32 v44, v37, v25 :: v_dual_add_f32 v43, v36, v24
	s_delay_alu instid0(VALU_DEP_2)
	v_dual_sub_f32 v47, v42, v28 :: v_dual_mul_f32 v64, 0xbf68dda4, v46
	v_mul_f32_e32 v61, 0xbf4178ce, v46
	global_wb scope:SCOPE_SE
	s_wait_dscnt 0x0
	s_barrier_signal -1
	s_barrier_wait -1
	v_fma_f32 v28, 0x3ed4b147, v44, -v64
	v_mul_f32_e32 v63, 0xbf0a6770, v46
	v_fma_f32 v42, 0xbf27a4f4, v44, -v61
	v_mul_f32_e32 v54, 0xbf68dda4, v47
	global_inv scope:SCOPE_SE
	v_add_f32_e32 v28, v7, v28
	v_fma_f32 v15, 0x3f575c64, v44, -v63
	v_add_f32_e32 v49, v7, v42
	v_mul_f32_e32 v60, 0xbf7d64f0, v46
	v_fma_f32 v45, 0x3ed4b147, v43, -v54
	v_add_f32_e32 v42, v35, v29
	v_dual_add_f32 v15, v7, v15 :: v_dual_mul_f32 v50, 0xbf7d64f0, v41
	s_delay_alu instid0(VALU_DEP_4) | instskip(SKIP_1) | instid1(VALU_DEP_3)
	v_fma_f32 v30, 0xbe11bafb, v44, -v60
	v_mul_f32_e32 v67, 0xbf4178ce, v47
	v_dual_mul_f32 v62, 0xbf0a6770, v41 :: v_dual_add_f32 v15, v45, v15
	s_delay_alu instid0(VALU_DEP_3) | instskip(NEXT) | instid1(VALU_DEP_3)
	v_dual_sub_f32 v39, v38, v39 :: v_dual_add_f32 v30, v7, v30
	v_fma_f32 v45, 0xbf27a4f4, v43, -v67
	v_dual_mul_f32 v59, 0x3f7d64f0, v47 :: v_dual_add_f32 v38, v33, v32
	s_delay_alu instid0(VALU_DEP_3) | instskip(NEXT) | instid1(VALU_DEP_3)
	v_mul_f32_e32 v66, 0x3f0a6770, v39
	v_add_f32_e32 v28, v45, v28
	s_delay_alu instid0(VALU_DEP_3) | instskip(SKIP_3) | instid1(VALU_DEP_4)
	v_fma_f32 v52, 0xbe11bafb, v43, -v59
	v_mul_f32_e32 v58, 0x3e903f40, v47
	v_fma_f32 v45, 0xbe11bafb, v42, -v50
	v_mul_f32_e32 v48, 0x3e903f40, v41
	v_add_f32_e32 v49, v52, v49
	s_delay_alu instid0(VALU_DEP_4) | instskip(NEXT) | instid1(VALU_DEP_4)
	v_fma_f32 v51, 0xbf75a155, v43, -v58
	v_add_f32_e32 v15, v45, v15
	s_delay_alu instid0(VALU_DEP_4) | instskip(SKIP_3) | instid1(VALU_DEP_4)
	v_fma_f32 v52, 0xbf75a155, v42, -v48
	v_sub_f32_e32 v45, v40, v27
	v_add_f32_e32 v40, v34, v31
	v_dual_add_f32 v30, v51, v30 :: v_dual_mul_f32 v51, 0x3f68dda4, v41
	v_add_f32_e32 v27, v52, v28
	v_fma_f32 v52, 0x3f575c64, v42, -v62
	v_mul_f32_e32 v55, 0x3f7d64f0, v45
	v_mul_f32_e32 v57, 0xbe903f40, v45
	v_fma_f32 v28, 0x3ed4b147, v42, -v51
	v_mul_f32_e32 v53, 0xbf4178ce, v45
	v_add_f32_e32 v68, v52, v49
	v_fma_f32 v49, 0xbe11bafb, v40, -v55
	s_delay_alu instid0(VALU_DEP_4) | instskip(NEXT) | instid1(VALU_DEP_4)
	v_add_f32_e32 v28, v28, v30
	v_fma_f32 v30, 0xbf27a4f4, v40, -v53
	s_delay_alu instid0(VALU_DEP_1) | instskip(NEXT) | instid1(VALU_DEP_1)
	v_dual_mul_f32 v56, 0xbf0a6770, v45 :: v_dual_add_f32 v15, v30, v15
	v_fma_f32 v52, 0x3f575c64, v40, -v56
	v_add_f32_e32 v30, v49, v27
	v_fma_f32 v27, 0xbf75a155, v40, -v57
	v_mul_f32_e32 v65, 0xbe903f40, v39
	s_delay_alu instid0(VALU_DEP_4) | instskip(SKIP_1) | instid1(VALU_DEP_4)
	v_add_f32_e32 v69, v52, v28
	v_fma_f32 v28, 0x3f575c64, v38, -v66
	v_dual_mul_f32 v49, 0x3f68dda4, v39 :: v_dual_add_f32 v68, v27, v68
	s_delay_alu instid0(VALU_DEP_4) | instskip(NEXT) | instid1(VALU_DEP_3)
	v_fma_f32 v27, 0xbf75a155, v38, -v65
	v_add_f32_e32 v28, v28, v30
	s_delay_alu instid0(VALU_DEP_3) | instskip(SKIP_1) | instid1(VALU_DEP_4)
	v_fma_f32 v71, 0x3ed4b147, v38, -v49
	v_mul_f32_e32 v52, 0xbf4178ce, v39
	v_add_f32_e32 v27, v27, v15
	s_delay_alu instid0(VALU_DEP_3) | instskip(NEXT) | instid1(VALU_DEP_3)
	v_add_f32_e32 v15, v71, v68
	v_fma_f32 v70, 0xbf27a4f4, v38, -v52
	s_delay_alu instid0(VALU_DEP_1)
	v_add_f32_e32 v30, v70, v69
	s_and_saveexec_b32 s4, s1
	s_cbranch_execz .LBB0_29
; %bb.28:
	v_dual_add_f32 v37, v7, v37 :: v_dual_mul_f32 v68, 0x3f575c64, v44
	v_dual_mul_f32 v69, 0x3ed4b147, v44 :: v_dual_mul_f32 v76, 0x3ed4b147, v42
	v_dual_mul_f32 v71, 0xbf27a4f4, v44 :: v_dual_mul_f32 v72, 0xbf27a4f4, v43
	s_delay_alu instid0(VALU_DEP_3) | instskip(SKIP_3) | instid1(VALU_DEP_4)
	v_dual_add_f32 v36, v37, v36 :: v_dual_mul_f32 v37, 0x3ed4b147, v43
	v_mul_f32_e32 v70, 0xbe11bafb, v44
	v_mul_f32_e32 v78, 0xbe11bafb, v40
	;; [unrolled: 1-line block ×3, first 2 shown]
	v_add_f32_e32 v35, v36, v35
	v_mul_f32_e32 v73, 0xbf75a155, v43
	v_mul_f32_e32 v36, 0xbe11bafb, v42
	;; [unrolled: 1-line block ×3, first 2 shown]
	v_dual_mul_f32 v75, 0xbf75a155, v42 :: v_dual_mul_f32 v80, 0xbf75a155, v40
	v_add_f32_e32 v34, v35, v34
	v_mul_f32_e32 v74, 0xbe11bafb, v43
	v_dual_mul_f32 v35, 0xbf27a4f4, v40 :: v_dual_mul_f32 v82, 0xbf27a4f4, v38
	v_mul_u32_u24_e32 v23, 0x84, v23
	s_delay_alu instid0(VALU_DEP_4) | instskip(SKIP_1) | instid1(VALU_DEP_3)
	v_add_f32_e32 v33, v34, v33
	v_mul_f32_e32 v77, 0x3f575c64, v42
	v_add3_u32 v23, 0, v23, v26
	s_delay_alu instid0(VALU_DEP_3) | instskip(NEXT) | instid1(VALU_DEP_1)
	v_add_f32_e32 v32, v33, v32
	v_dual_mul_f32 v34, 0xbf75a155, v38 :: v_dual_add_f32 v31, v32, v31
	v_add_f32_e32 v32, v60, v70
	v_add_f32_e32 v60, v61, v71
	s_delay_alu instid0(VALU_DEP_3)
	v_dual_add_f32 v34, v65, v34 :: v_dual_add_f32 v29, v31, v29
	v_mul_f32_e32 v33, 0xbe903f40, v46
	v_dual_mul_f32 v46, 0x3f0a6770, v47 :: v_dual_add_f32 v31, v54, v37
	v_add_f32_e32 v47, v63, v68
	v_mul_f32_e32 v83, 0x3ed4b147, v38
	v_dual_add_f32 v63, v64, v69 :: v_dual_add_f32 v24, v29, v24
	v_fmamk_f32 v61, v44, 0xbf75a155, v33
	v_fma_f32 v33, 0xbf75a155, v44, -v33
	v_add_f32_e32 v44, v7, v47
	s_delay_alu instid0(VALU_DEP_4)
	v_dual_add_f32 v37, v67, v72 :: v_dual_add_f32 v24, v24, v25
	v_add_f32_e32 v47, v7, v63
	v_add_f32_e32 v29, v7, v32
	;; [unrolled: 1-line block ×6, first 2 shown]
	v_dual_add_f32 v31, v58, v73 :: v_dual_fmamk_f32 v44, v43, 0x3f575c64, v46
	v_add_f32_e32 v33, v59, v74
	v_fma_f32 v43, 0x3f575c64, v43, -v46
	s_delay_alu instid0(VALU_DEP_3) | instskip(NEXT) | instid1(VALU_DEP_3)
	v_add_f32_e32 v29, v31, v29
	v_add_f32_e32 v31, v33, v32
	v_dual_add_f32 v33, v50, v36 :: v_dual_mul_f32 v36, 0xbf4178ce, v41
	v_dual_add_f32 v37, v37, v47 :: v_dual_add_f32 v32, v44, v54
	s_delay_alu instid0(VALU_DEP_2) | instskip(SKIP_1) | instid1(VALU_DEP_2)
	v_dual_add_f32 v41, v48, v75 :: v_dual_fmamk_f32 v44, v42, 0xbf27a4f4, v36
	v_fma_f32 v36, 0xbf27a4f4, v42, -v36
	v_add_f32_e32 v37, v41, v37
	s_delay_alu instid0(VALU_DEP_3) | instskip(SKIP_2) | instid1(VALU_DEP_2)
	v_dual_mul_f32 v41, 0x3f68dda4, v45 :: v_dual_add_f32 v32, v44, v32
	v_add_f32_e32 v7, v43, v7
	v_add_f32_e32 v43, v51, v76
	;; [unrolled: 1-line block ×3, first 2 shown]
	s_delay_alu instid0(VALU_DEP_2) | instskip(NEXT) | instid1(VALU_DEP_1)
	v_dual_add_f32 v29, v43, v29 :: v_dual_add_f32 v36, v56, v79
	v_add_f32_e32 v29, v36, v29
	v_fmamk_f32 v36, v40, 0x3ed4b147, v41
	s_delay_alu instid0(VALU_DEP_1) | instskip(SKIP_3) | instid1(VALU_DEP_1)
	v_add_f32_e32 v32, v36, v32
	v_add_f32_e32 v36, v49, v83
	;; [unrolled: 1-line block ×7, first 2 shown]
	s_delay_alu instid0(VALU_DEP_2) | instskip(NEXT) | instid1(VALU_DEP_2)
	v_add_f32_e32 v25, v33, v25
	v_add_f32_e32 v33, v35, v37
	;; [unrolled: 1-line block ×3, first 2 shown]
	v_fma_f32 v37, 0x3ed4b147, v40, -v41
	s_delay_alu instid0(VALU_DEP_4) | instskip(NEXT) | instid1(VALU_DEP_3)
	v_dual_add_f32 v25, v34, v25 :: v_dual_mul_f32 v34, 0xbf7d64f0, v39
	v_add_f32_e32 v31, v35, v31
	v_add_f32_e32 v35, v66, v81
	s_delay_alu instid0(VALU_DEP_4) | instskip(NEXT) | instid1(VALU_DEP_3)
	v_add_f32_e32 v7, v37, v7
	v_dual_fmamk_f32 v37, v38, 0xbe11bafb, v34 :: v_dual_add_f32 v26, v36, v31
	s_delay_alu instid0(VALU_DEP_3) | instskip(SKIP_2) | instid1(VALU_DEP_4)
	v_add_f32_e32 v33, v35, v33
	v_add_f32_e32 v35, v52, v82
	v_fma_f32 v34, 0xbe11bafb, v38, -v34
	v_add_f32_e32 v31, v37, v32
	s_delay_alu instid0(VALU_DEP_3) | instskip(NEXT) | instid1(VALU_DEP_3)
	v_add_f32_e32 v29, v35, v29
	v_add_f32_e32 v7, v34, v7
	ds_store_2addr_b32 v23, v24, v25 offset1:3
	ds_store_2addr_b32 v23, v33, v29 offset0:6 offset1:9
	ds_store_2addr_b32 v23, v26, v31 offset0:12 offset1:15
	ds_store_2addr_b32 v23, v7, v15 offset0:18 offset1:21
	ds_store_2addr_b32 v23, v30, v28 offset0:24 offset1:27
	ds_store_b32 v23, v27 offset:120
.LBB0_29:
	s_wait_alu 0xfffe
	s_or_b32 exec_lo, exec_lo, s4
	global_wb scope:SCOPE_SE
	s_wait_dscnt 0x0
	s_barrier_signal -1
	s_barrier_wait -1
	global_inv scope:SCOPE_SE
	ds_load_b32 v7, v0
	ds_load_b32 v35, v0 offset:1056
	ds_load_b32 v34, v0 offset:2112
	;; [unrolled: 1-line block ×6, first 2 shown]
                                        ; implicit-def: $vgpr26
                                        ; implicit-def: $vgpr23
                                        ; implicit-def: $vgpr25
	s_and_saveexec_b32 s1, s0
	s_cbranch_execz .LBB0_31
; %bb.30:
	ds_load_b32 v15, v0 offset:924
	ds_load_b32 v30, v0 offset:1980
	;; [unrolled: 1-line block ×7, first 2 shown]
.LBB0_31:
	s_wait_alu 0xfffe
	s_or_b32 exec_lo, exec_lo, s1
	v_mul_lo_u16 v20, 0xf9, v20
	s_delay_alu instid0(VALU_DEP_1) | instskip(NEXT) | instid1(VALU_DEP_1)
	v_lshrrev_b16 v20, 13, v20
	v_mul_lo_u16 v24, v20, 33
	s_delay_alu instid0(VALU_DEP_1) | instskip(NEXT) | instid1(VALU_DEP_1)
	v_sub_nc_u16 v24, v3, v24
	v_and_b32_e32 v24, 0xff, v24
	s_delay_alu instid0(VALU_DEP_1) | instskip(NEXT) | instid1(VALU_DEP_1)
	v_mul_u32_u24_e32 v38, 6, v24
	v_lshlrev_b32_e32 v38, 3, v38
	s_clause 0x1
	global_load_b128 v[43:46], v38, s[8:9] offset:240
	global_load_b128 v[47:50], v38, s[8:9] offset:256
	v_add_nc_u32_e32 v36, 0xe7, v3
	global_load_b128 v[51:54], v38, s[8:9] offset:272
	s_wait_loadcnt_dscnt 0x205
	v_mul_f32_e32 v41, v35, v44
	v_and_b32_e32 v37, 0xffff, v36
	s_wait_loadcnt 0x1
	v_dual_mul_f32 v39, v18, v50 :: v_dual_and_b32 v20, 0xffff, v20
	v_mul_f32_e32 v38, v21, v46
	v_fma_f32 v41, v22, v43, -v41
	v_mul_u32_u24_e32 v37, 0xf83f, v37
	s_wait_dscnt 0x2
	v_fmac_f32_e32 v39, v32, v49
	v_mul_u32_u24_e32 v20, 0x39c, v20
	s_delay_alu instid0(VALU_DEP_3) | instskip(NEXT) | instid1(VALU_DEP_1)
	v_lshrrev_b32_e32 v37, 21, v37
	v_mul_lo_u16 v37, v37, 33
	s_delay_alu instid0(VALU_DEP_1) | instskip(NEXT) | instid1(VALU_DEP_1)
	v_sub_nc_u16 v36, v36, v37
	v_and_b32_e32 v36, 0xffff, v36
	s_delay_alu instid0(VALU_DEP_1) | instskip(NEXT) | instid1(VALU_DEP_1)
	v_mul_u32_u24_e32 v37, 6, v36
	v_lshlrev_b32_e32 v37, 3, v37
	s_clause 0x2
	global_load_b128 v[55:58], v37, s[8:9] offset:240
	global_load_b128 v[59:62], v37, s[8:9] offset:256
	;; [unrolled: 1-line block ×3, first 2 shown]
	v_lshlrev_b32_e32 v24, 2, v24
	v_mul_f32_e32 v37, v22, v44
	v_mul_f32_e32 v44, v34, v46
	;; [unrolled: 1-line block ×3, first 2 shown]
	s_wait_loadcnt 0x3
	v_mul_f32_e32 v40, v17, v52
	global_wb scope:SCOPE_SE
	s_wait_loadcnt_dscnt 0x0
	v_fmac_f32_e32 v37, v35, v43
	v_fma_f32 v35, v21, v45, -v44
	v_fmac_f32_e32 v38, v34, v45
	s_barrier_signal -1
	s_barrier_wait -1
	global_inv scope:SCOPE_SE
	v_mul_f32_e32 v43, v28, v58
	v_add3_u32 v24, 0, v20, v24
	v_lshl_add_u32 v20, v36, 2, 0
	v_dual_mul_f32 v36, v19, v48 :: v_dual_mul_f32 v45, v26, v62
	v_mul_f32_e32 v48, v32, v50
	v_mul_f32_e32 v50, v31, v52
	;; [unrolled: 1-line block ×4, first 2 shown]
	v_fma_f32 v34, v19, v47, -v46
	v_dual_fmac_f32 v36, v33, v47 :: v_dual_mul_f32 v47, v23, v66
	v_fmac_f32_e32 v40, v31, v51
	v_dual_mul_f32 v42, v16, v54 :: v_dual_mul_f32 v19, v11, v56
	v_fma_f32 v33, v18, v49, -v48
	v_mul_f32_e32 v31, v12, v66
	v_fma_f32 v17, v17, v51, -v50
	v_sub_f32_e32 v51, v38, v40
	v_fmac_f32_e32 v21, v28, v57
	v_dual_fmac_f32 v42, v29, v53 :: v_dual_mul_f32 v29, v14, v64
	v_fma_f32 v16, v16, v53, -v52
	v_sub_f32_e32 v53, v39, v36
	v_dual_mul_f32 v44, v27, v60 :: v_dual_fmac_f32 v19, v30, v55
	v_mul_f32_e32 v18, v8, v60
	v_add_f32_e32 v50, v35, v17
	v_add_f32_e32 v52, v34, v33
	v_mul_f32_e32 v32, v30, v56
	v_fma_f32 v30, v10, v57, -v43
	v_sub_f32_e32 v43, v53, v51
	v_add_f32_e32 v48, v41, v16
	v_fma_f32 v28, v8, v59, -v44
	v_sub_f32_e32 v49, v37, v42
	s_delay_alu instid0(VALU_DEP_4) | instskip(NEXT) | instid1(VALU_DEP_4)
	v_dual_mul_f32 v22, v13, v62 :: v_dual_mul_f32 v43, 0xbf08b237, v43
	v_dual_add_f32 v8, v50, v48 :: v_dual_fmac_f32 v29, v25, v63
	s_delay_alu instid0(VALU_DEP_3) | instskip(SKIP_2) | instid1(VALU_DEP_4)
	v_sub_f32_e32 v44, v49, v53
	v_fmac_f32_e32 v18, v27, v59
	v_fma_f32 v27, v13, v61, -v45
	v_dual_add_f32 v8, v52, v8 :: v_dual_sub_f32 v45, v51, v49
	v_fmac_f32_e32 v22, v26, v61
	v_fmac_f32_e32 v31, v23, v65
	s_delay_alu instid0(VALU_DEP_3)
	v_add_f32_e32 v9, v9, v8
	v_sub_f32_e32 v13, v52, v50
	v_fma_f32 v32, v11, v55, -v32
	v_sub_f32_e32 v11, v48, v52
	v_mul_f32_e32 v46, v25, v64
	v_sub_f32_e32 v10, v50, v48
	v_fmamk_f32 v8, v8, 0xbf955555, v9
	v_mul_f32_e32 v48, 0x3f5ff5aa, v45
	v_mul_f32_e32 v11, 0x3f4a47b2, v11
	v_fma_f32 v26, v14, v63, -v46
	v_mul_f32_e32 v46, 0x3d64c772, v13
	v_fma_f32 v25, v12, v65, -v47
	s_delay_alu instid0(VALU_DEP_4) | instskip(NEXT) | instid1(VALU_DEP_3)
	v_fmamk_f32 v13, v13, 0x3d64c772, v11
	v_fma_f32 v46, 0x3f3bfb3b, v10, -v46
	v_fma_f32 v10, 0xbf3bfb3b, v10, -v11
	s_delay_alu instid0(VALU_DEP_3) | instskip(NEXT) | instid1(VALU_DEP_2)
	v_add_f32_e32 v11, v13, v8
	v_add_f32_e32 v10, v10, v8
	v_add_f32_e32 v14, v53, v51
	v_add_f32_e32 v8, v46, v8
	s_delay_alu instid0(VALU_DEP_2) | instskip(SKIP_2) | instid1(VALU_DEP_3)
	v_dual_add_f32 v14, v14, v49 :: v_dual_fmamk_f32 v49, v44, 0x3eae86e6, v43
	v_fma_f32 v43, 0x3f5ff5aa, v45, -v43
	v_fma_f32 v44, 0xbeae86e6, v44, -v48
	v_fmac_f32_e32 v49, 0x3ee1c552, v14
	s_delay_alu instid0(VALU_DEP_3) | instskip(NEXT) | instid1(VALU_DEP_3)
	v_fmac_f32_e32 v43, 0x3ee1c552, v14
	v_fmac_f32_e32 v44, 0x3ee1c552, v14
	s_delay_alu instid0(VALU_DEP_3) | instskip(NEXT) | instid1(VALU_DEP_3)
	v_add_f32_e32 v12, v49, v11
	v_sub_f32_e32 v14, v8, v43
	s_delay_alu instid0(VALU_DEP_3)
	v_dual_add_f32 v13, v44, v10 :: v_dual_add_f32 v8, v43, v8
	v_dual_sub_f32 v10, v10, v44 :: v_dual_sub_f32 v11, v11, v49
	ds_store_2addr_b32 v24, v9, v12 offset1:33
	ds_store_2addr_b32 v24, v13, v14 offset0:66 offset1:99
	ds_store_2addr_b32 v24, v8, v10 offset0:132 offset1:165
	ds_store_b32 v24, v11 offset:792
	s_and_saveexec_b32 s1, s0
	s_cbranch_execz .LBB0_33
; %bb.32:
	v_dual_add_f32 v8, v32, v25 :: v_dual_add_f32 v9, v30, v26
	v_add_f32_e32 v10, v28, v27
	v_dual_sub_f32 v11, v19, v31 :: v_dual_sub_f32 v12, v22, v18
	s_delay_alu instid0(VALU_DEP_3) | instskip(NEXT) | instid1(VALU_DEP_3)
	v_add_f32_e32 v13, v9, v8
	v_dual_sub_f32 v14, v21, v29 :: v_dual_sub_f32 v23, v8, v10
	s_delay_alu instid0(VALU_DEP_3) | instskip(NEXT) | instid1(VALU_DEP_2)
	v_dual_sub_f32 v43, v10, v9 :: v_dual_sub_f32 v44, v11, v12
	v_dual_add_f32 v10, v10, v13 :: v_dual_sub_f32 v13, v12, v14
	s_delay_alu instid0(VALU_DEP_3) | instskip(SKIP_1) | instid1(VALU_DEP_3)
	v_dual_add_f32 v12, v12, v14 :: v_dual_mul_f32 v23, 0x3f4a47b2, v23
	v_sub_f32_e32 v14, v14, v11
	v_add_f32_e32 v4, v4, v10
	v_dual_sub_f32 v8, v9, v8 :: v_dual_mul_f32 v9, 0x3d64c772, v43
	s_delay_alu instid0(VALU_DEP_4) | instskip(NEXT) | instid1(VALU_DEP_4)
	v_fmamk_f32 v43, v43, 0x3d64c772, v23
	v_mul_f32_e32 v45, 0x3f5ff5aa, v14
	s_delay_alu instid0(VALU_DEP_4) | instskip(NEXT) | instid1(VALU_DEP_4)
	v_dual_fmamk_f32 v10, v10, 0xbf955555, v4 :: v_dual_add_f32 v11, v12, v11
	v_fma_f32 v12, 0xbf3bfb3b, v8, -v23
	v_mul_f32_e32 v13, 0xbf08b237, v13
	s_delay_alu instid0(VALU_DEP_4) | instskip(SKIP_1) | instid1(VALU_DEP_4)
	v_fma_f32 v23, 0xbeae86e6, v44, -v45
	v_fma_f32 v8, 0x3f3bfb3b, v8, -v9
	v_add_f32_e32 v12, v12, v10
	s_delay_alu instid0(VALU_DEP_4) | instskip(NEXT) | instid1(VALU_DEP_3)
	v_fma_f32 v14, 0x3f5ff5aa, v14, -v13
	v_dual_fmac_f32 v23, 0x3ee1c552, v11 :: v_dual_add_f32 v8, v8, v10
	v_fmamk_f32 v9, v44, 0x3eae86e6, v13
	s_delay_alu instid0(VALU_DEP_3) | instskip(NEXT) | instid1(VALU_DEP_3)
	v_dual_add_f32 v43, v43, v10 :: v_dual_fmac_f32 v14, 0x3ee1c552, v11
	v_sub_f32_e32 v10, v12, v23
	s_delay_alu instid0(VALU_DEP_3) | instskip(NEXT) | instid1(VALU_DEP_3)
	v_dual_add_f32 v12, v23, v12 :: v_dual_fmac_f32 v9, 0x3ee1c552, v11
	v_dual_sub_f32 v11, v8, v14 :: v_dual_add_nc_u32 v44, 0x1800, v20
	s_delay_alu instid0(VALU_DEP_2)
	v_dual_add_f32 v8, v14, v8 :: v_dual_add_f32 v13, v9, v43
	v_sub_f32_e32 v9, v43, v9
	ds_store_2addr_b32 v44, v4, v13 offset0:81 offset1:114
	ds_store_2addr_b32 v44, v12, v11 offset0:147 offset1:180
	;; [unrolled: 1-line block ×3, first 2 shown]
	ds_store_b32 v20, v9 offset:7260
.LBB0_33:
	s_wait_alu 0xfffe
	s_or_b32 exec_lo, exec_lo, s1
	v_dual_add_f32 v4, v37, v42 :: v_dual_sub_f32 v11, v35, v17
	v_sub_f32_e32 v12, v33, v34
	v_add_f32_e32 v8, v38, v40
	v_dual_sub_f32 v9, v41, v16 :: v_dual_add_f32 v10, v36, v39
	global_wb scope:SCOPE_SE
	s_wait_dscnt 0x0
	s_barrier_signal -1
	v_add_f32_e32 v13, v8, v4
	v_add_f32_e32 v16, v12, v11
	v_sub_f32_e32 v14, v8, v4
	v_sub_f32_e32 v8, v10, v8
	s_barrier_wait -1
	global_inv scope:SCOPE_SE
	v_add_f32_e32 v23, v16, v9
	v_sub_f32_e32 v4, v4, v10
	v_dual_add_f32 v10, v10, v13 :: v_dual_sub_f32 v13, v12, v11
	v_dual_sub_f32 v11, v11, v9 :: v_dual_sub_f32 v12, v9, v12
	v_add_nc_u32_e32 v16, 0xe40, v0
	v_add_nc_u32_e32 v17, 0x1580, v0
	s_delay_alu instid0(VALU_DEP_4) | instskip(NEXT) | instid1(VALU_DEP_4)
	v_mul_f32_e32 v9, 0xbf08b237, v13
	v_mul_f32_e32 v13, 0x3f5ff5aa, v11
	v_add_f32_e32 v33, v7, v10
	v_mul_f32_e32 v7, 0x3d64c772, v8
	s_delay_alu instid0(VALU_DEP_4) | instskip(NEXT) | instid1(VALU_DEP_4)
	v_fma_f32 v35, 0x3f5ff5aa, v11, -v9
	v_fma_f32 v36, 0xbeae86e6, v12, -v13
	s_delay_alu instid0(VALU_DEP_3) | instskip(NEXT) | instid1(VALU_DEP_2)
	v_fma_f32 v7, 0x3f3bfb3b, v14, -v7
	v_fmac_f32_e32 v36, 0x3ee1c552, v23
	s_delay_alu instid0(VALU_DEP_4) | instskip(SKIP_1) | instid1(VALU_DEP_1)
	v_fmac_f32_e32 v35, 0x3ee1c552, v23
	v_fmamk_f32 v34, v12, 0x3eae86e6, v9
	v_fmac_f32_e32 v34, 0x3ee1c552, v23
	v_fmamk_f32 v10, v10, 0xbf955555, v33
	v_mul_f32_e32 v4, 0x3f4a47b2, v4
	s_delay_alu instid0(VALU_DEP_1) | instskip(NEXT) | instid1(VALU_DEP_1)
	v_fmamk_f32 v8, v8, 0x3d64c772, v4
	v_add_f32_e32 v37, v8, v10
	v_fma_f32 v4, 0xbf3bfb3b, v14, -v4
	s_delay_alu instid0(VALU_DEP_2) | instskip(NEXT) | instid1(VALU_DEP_2)
	v_sub_f32_e32 v23, v37, v34
	v_dual_add_f32 v39, v4, v10 :: v_dual_add_nc_u32 v4, 0x700, v0
	v_add_f32_e32 v38, v7, v10
	ds_load_2addr_b32 v[7:8], v0 offset1:231
	ds_load_2addr_b32 v[13:14], v4 offset0:14 offset1:245
	ds_load_2addr_b32 v[11:12], v16 offset0:12 offset1:243
	;; [unrolled: 1-line block ×3, first 2 shown]
	v_sub_f32_e32 v40, v39, v36
	v_add_f32_e32 v41, v35, v38
	v_sub_f32_e32 v35, v38, v35
	v_add_f32_e32 v36, v36, v39
	v_add_f32_e32 v34, v34, v37
	global_wb scope:SCOPE_SE
	s_wait_dscnt 0x0
	s_barrier_signal -1
	s_barrier_wait -1
	global_inv scope:SCOPE_SE
	ds_store_2addr_b32 v24, v33, v23 offset1:33
	ds_store_2addr_b32 v24, v40, v41 offset0:66 offset1:99
	ds_store_2addr_b32 v24, v35, v36 offset0:132 offset1:165
	ds_store_b32 v24, v34 offset:792
	s_and_saveexec_b32 s1, s0
	s_cbranch_execz .LBB0_35
; %bb.34:
	v_dual_add_f32 v19, v19, v31 :: v_dual_add_f32 v18, v18, v22
	v_dual_add_f32 v21, v21, v29 :: v_dual_sub_f32 v22, v30, v26
	v_dual_sub_f32 v23, v32, v25 :: v_dual_sub_f32 v24, v27, v28
	s_delay_alu instid0(VALU_DEP_2) | instskip(NEXT) | instid1(VALU_DEP_4)
	v_add_f32_e32 v25, v21, v19
	v_dual_sub_f32 v26, v21, v19 :: v_dual_sub_f32 v19, v19, v18
	v_sub_f32_e32 v21, v18, v21
	s_delay_alu instid0(VALU_DEP_3) | instskip(SKIP_1) | instid1(VALU_DEP_4)
	v_dual_add_f32 v27, v24, v22 :: v_dual_add_f32 v18, v18, v25
	v_dual_sub_f32 v25, v24, v22 :: v_dual_sub_f32 v22, v22, v23
	v_dual_sub_f32 v24, v23, v24 :: v_dual_mul_f32 v19, 0x3f4a47b2, v19
	s_delay_alu instid0(VALU_DEP_2) | instskip(NEXT) | instid1(VALU_DEP_4)
	v_mul_f32_e32 v25, 0xbf08b237, v25
	v_add_f32_e32 v15, v15, v18
	s_delay_alu instid0(VALU_DEP_4) | instskip(SKIP_4) | instid1(VALU_DEP_4)
	v_dual_add_f32 v23, v27, v23 :: v_dual_mul_f32 v28, 0x3f5ff5aa, v22
	v_mul_f32_e32 v27, 0x3d64c772, v21
	v_fmamk_f32 v21, v21, 0x3d64c772, v19
	v_fma_f32 v19, 0xbf3bfb3b, v26, -v19
	v_fma_f32 v22, 0x3f5ff5aa, v22, -v25
	;; [unrolled: 1-line block ×3, first 2 shown]
	v_fmamk_f32 v26, v24, 0x3eae86e6, v25
	v_fmamk_f32 v18, v18, 0xbf955555, v15
	v_fma_f32 v24, 0xbeae86e6, v24, -v28
	v_add_nc_u32_e32 v28, 0x1800, v20
	s_delay_alu instid0(VALU_DEP_3) | instskip(NEXT) | instid1(VALU_DEP_3)
	v_dual_fmac_f32 v26, 0x3ee1c552, v23 :: v_dual_add_f32 v21, v21, v18
	v_dual_add_f32 v25, v27, v18 :: v_dual_fmac_f32 v24, 0x3ee1c552, v23
	v_fmac_f32_e32 v22, 0x3ee1c552, v23
	v_add_f32_e32 v18, v19, v18
	s_delay_alu instid0(VALU_DEP_4) | instskip(SKIP_1) | instid1(VALU_DEP_4)
	v_sub_f32_e32 v19, v21, v26
	v_add_f32_e32 v21, v26, v21
	v_add_f32_e32 v27, v22, v25
	s_delay_alu instid0(VALU_DEP_4)
	v_dual_sub_f32 v23, v18, v24 :: v_dual_sub_f32 v22, v25, v22
	v_add_f32_e32 v18, v24, v18
	ds_store_2addr_b32 v28, v15, v19 offset0:81 offset1:114
	ds_store_2addr_b32 v28, v23, v27 offset0:147 offset1:180
	;; [unrolled: 1-line block ×3, first 2 shown]
	ds_store_b32 v20, v21 offset:7260
.LBB0_35:
	s_wait_alu 0xfffe
	s_or_b32 exec_lo, exec_lo, s1
	v_mul_u32_u24_e32 v15, 3, v3
	global_wb scope:SCOPE_SE
	s_wait_dscnt 0x0
	s_barrier_signal -1
	s_barrier_wait -1
	global_inv scope:SCOPE_SE
	v_lshlrev_b32_e32 v15, 3, v15
	s_clause 0x1
	global_load_b128 v[18:21], v15, s[8:9] offset:1824
	global_load_b64 v[22:23], v15, s[8:9] offset:1840
	ds_load_2addr_b32 v[24:25], v4 offset0:14 offset1:245
	ds_load_2addr_b32 v[26:27], v16 offset0:12 offset1:243
	ds_load_2addr_b32 v[28:29], v17 offset0:10 offset1:241
	ds_load_2addr_b32 v[30:31], v0 offset1:231
	global_wb scope:SCOPE_SE
	s_wait_loadcnt_dscnt 0x0
	s_barrier_signal -1
	s_barrier_wait -1
	global_inv scope:SCOPE_SE
	v_dual_mul_f32 v34, v11, v21 :: v_dual_mul_f32 v15, v24, v19
	v_mul_f32_e32 v38, v27, v21
	v_dual_mul_f32 v32, v13, v19 :: v_dual_mul_f32 v33, v26, v21
	v_dual_mul_f32 v36, v9, v23 :: v_dual_mul_f32 v21, v12, v21
	s_delay_alu instid0(VALU_DEP_3) | instskip(SKIP_1) | instid1(VALU_DEP_4)
	v_fma_f32 v12, v12, v20, -v38
	v_dual_mul_f32 v35, v28, v23 :: v_dual_fmac_f32 v34, v26, v20
	v_dual_mul_f32 v37, v25, v19 :: v_dual_fmac_f32 v32, v24, v18
	s_delay_alu instid0(VALU_DEP_4)
	v_dual_mul_f32 v19, v14, v19 :: v_dual_fmac_f32 v36, v28, v22
	v_mul_f32_e32 v39, v29, v23
	v_dual_mul_f32 v23, v10, v23 :: v_dual_sub_f32 v12, v8, v12
	v_fma_f32 v13, v13, v18, -v15
	v_fma_f32 v11, v11, v20, -v33
	;; [unrolled: 1-line block ×4, first 2 shown]
	v_fma_f32 v8, v8, 2.0, -v12
	v_fmac_f32_e32 v21, v27, v20
	v_dual_fmac_f32 v19, v25, v18 :: v_dual_sub_f32 v18, v32, v36
	v_fma_f32 v10, v10, v22, -v39
	v_sub_f32_e32 v11, v7, v11
	s_delay_alu instid0(VALU_DEP_4) | instskip(SKIP_2) | instid1(VALU_DEP_4)
	v_dual_sub_f32 v20, v31, v21 :: v_dual_sub_f32 v15, v30, v34
	v_sub_f32_e32 v9, v13, v9
	v_fmac_f32_e32 v23, v29, v22
	v_fma_f32 v7, v7, 2.0, -v11
	s_delay_alu instid0(VALU_DEP_4) | instskip(NEXT) | instid1(VALU_DEP_4)
	v_fma_f32 v25, v31, 2.0, -v20
	v_dual_sub_f32 v21, v14, v10 :: v_dual_add_f32 v24, v15, v9
	s_delay_alu instid0(VALU_DEP_4)
	v_sub_f32_e32 v10, v19, v23
	v_fma_f32 v23, v32, 2.0, -v18
	v_sub_f32_e32 v18, v11, v18
	v_fma_f32 v13, v13, 2.0, -v9
	v_fma_f32 v14, v14, 2.0, -v21
	v_sub_f32_e32 v9, v12, v10
	v_fma_f32 v19, v19, 2.0, -v10
	v_fma_f32 v10, v11, 2.0, -v18
	s_delay_alu instid0(VALU_DEP_4) | instskip(NEXT) | instid1(VALU_DEP_4)
	v_dual_sub_f32 v13, v7, v13 :: v_dual_sub_f32 v14, v8, v14
	v_fma_f32 v11, v12, 2.0, -v9
	v_fma_f32 v22, v30, 2.0, -v15
	;; [unrolled: 1-line block ×3, first 2 shown]
	s_delay_alu instid0(VALU_DEP_4)
	v_fma_f32 v7, v7, 2.0, -v13
	v_fma_f32 v8, v8, 2.0, -v14
	ds_store_2addr_b32 v4, v13, v18 offset0:14 offset1:245
	ds_store_2addr_b32 v17, v14, v9 offset0:10 offset1:241
	ds_store_2addr_b32 v0, v7, v10 offset1:231
	ds_store_2addr_b32 v16, v8, v11 offset0:12 offset1:243
	v_sub_f32_e32 v18, v25, v19
	global_wb scope:SCOPE_SE
	s_wait_dscnt 0x0
	s_barrier_signal -1
	s_barrier_wait -1
	global_inv scope:SCOPE_SE
	ds_load_2addr_b32 v[7:8], v0 offset1:231
	ds_load_2addr_b32 v[11:12], v16 offset0:12 offset1:243
	ds_load_2addr_b32 v[9:10], v4 offset0:14 offset1:245
	;; [unrolled: 1-line block ×3, first 2 shown]
	v_sub_f32_e32 v23, v22, v23
	v_add_f32_e32 v19, v20, v21
	global_wb scope:SCOPE_SE
	s_wait_dscnt 0x0
	s_barrier_signal -1
	s_barrier_wait -1
	v_fma_f32 v21, v22, 2.0, -v23
	v_fma_f32 v22, v25, 2.0, -v18
	;; [unrolled: 1-line block ×3, first 2 shown]
	global_inv scope:SCOPE_SE
	ds_store_2addr_b32 v0, v21, v15 offset1:231
	ds_store_2addr_b32 v4, v23, v24 offset0:14 offset1:245
	ds_store_2addr_b32 v16, v22, v20 offset0:12 offset1:243
	ds_store_2addr_b32 v17, v18, v19 offset0:10 offset1:241
	global_wb scope:SCOPE_SE
	s_wait_dscnt 0x0
	s_barrier_signal -1
	s_barrier_wait -1
	global_inv scope:SCOPE_SE
	s_and_saveexec_b32 s0, vcc_lo
	s_cbranch_execz .LBB0_37
; %bb.36:
	v_dual_mov_b32 v4, 0 :: v_dual_add_nc_u32 v25, 0x700, v0
	v_add_nc_u32_e32 v35, 0xe7, v3
	v_add_nc_u32_e32 v37, 0x1ce, v3
	v_lshrrev_b32_e32 v32, 2, v3
	s_delay_alu instid0(VALU_DEP_4)
	v_lshlrev_b64_e32 v[15:16], 3, v[3:4]
	v_mul_lo_u32 v31, s3, v5
	v_lshrrev_b32_e32 v34, 2, v35
	v_mul_lo_u32 v33, s2, v6
	v_mad_co_u64_u32 v[5:6], null, s2, v5, 0
	v_add_co_u32 v15, vcc_lo, s8, v15
	s_wait_alu 0xfffd
	v_add_co_ci_u32_e32 v16, vcc_lo, s9, v16, vcc_lo
	v_lshrrev_b32_e32 v36, 2, v37
	v_mul_hi_u32 v40, 0x23769481, v32
	v_mul_hi_u32 v41, 0x23769481, v34
	s_clause 0x3
	global_load_b64 v[17:18], v[15:16], off offset:12912
	global_load_b64 v[19:20], v[15:16], off offset:11064
	;; [unrolled: 1-line block ×4, first 2 shown]
	v_add_nc_u32_e32 v38, 0x2b5, v3
	v_mul_hi_u32 v42, 0x23769481, v36
	v_add3_u32 v6, v6, v33, v31
	v_add_nc_u32_e32 v27, 0x1580, v0
	ds_load_2addr_b32 v[23:24], v0 offset1:231
	v_lshrrev_b32_e32 v39, 2, v38
	v_lshrrev_b32_e32 v31, 5, v40
	;; [unrolled: 1-line block ×3, first 2 shown]
	v_lshlrev_b64_e32 v[5:6], 3, v[5:6]
	v_lshrrev_b32_e32 v40, 5, v42
	v_mul_hi_u32 v39, 0x23769481, v39
	v_mul_u32_u24_e32 v31, 0x39c, v31
	v_mul_u32_u24_e32 v41, 0x39c, v33
	v_dual_mov_b32 v32, v4 :: v_dual_add_nc_u32 v29, 0xe40, v0
	v_lshlrev_b64_e32 v[0:1], 3, v[1:2]
	v_mul_u32_u24_e32 v42, 0x39c, v40
	v_add_co_u32 v5, vcc_lo, s6, v5
	v_lshrrev_b32_e32 v39, 5, v39
	v_mov_b32_e32 v2, v4
	ds_load_2addr_b32 v[25:26], v25 offset0:14 offset1:245
	ds_load_2addr_b32 v[27:28], v27 offset0:10 offset1:241
	;; [unrolled: 1-line block ×3, first 2 shown]
	v_mov_b32_e32 v34, v4
	s_wait_alu 0xfffd
	v_add_co_ci_u32_e32 v6, vcc_lo, s7, v6, vcc_lo
	v_mul_u32_u24_e32 v43, 0x39c, v39
	v_sub_nc_u32_e32 v3, v3, v31
	v_sub_nc_u32_e32 v31, v35, v41
	v_mov_b32_e32 v36, v4
	v_sub_nc_u32_e32 v35, v37, v42
	v_add_co_u32 v41, vcc_lo, v5, v0
	v_sub_nc_u32_e32 v37, v38, v43
	s_wait_alu 0xfffd
	v_add_co_ci_u32_e32 v42, vcc_lo, v6, v1, vcc_lo
	v_lshlrev_b32_e32 v0, 3, v3
	v_mad_u32_u24 v1, 0x738, v33, v31
	v_mad_u32_u24 v33, 0x738, v40, v35
	;; [unrolled: 1-line block ×3, first 2 shown]
	s_delay_alu instid0(VALU_DEP_4) | instskip(NEXT) | instid1(VALU_DEP_4)
	v_add_co_u32 v5, vcc_lo, v41, v0
	v_add_nc_u32_e32 v31, 0x39c, v1
	v_lshlrev_b64_e32 v[0:1], 3, v[1:2]
	v_add_nc_u32_e32 v35, 0x39c, v33
	v_lshlrev_b64_e32 v[33:34], 3, v[33:34]
	v_lshlrev_b64_e32 v[37:38], 3, v[3:4]
	v_add_nc_u32_e32 v3, 0x39c, v3
	s_wait_alu 0xfffd
	v_add_co_ci_u32_e32 v6, vcc_lo, 0, v42, vcc_lo
	v_add_co_u32 v0, vcc_lo, v41, v0
	s_wait_alu 0xfffd
	v_add_co_ci_u32_e32 v1, vcc_lo, v42, v1, vcc_lo
	v_add_co_u32 v33, vcc_lo, v41, v33
	;; [unrolled: 3-line block ×3, first 2 shown]
	s_wait_alu 0xfffd
	v_add_co_ci_u32_e32 v38, vcc_lo, v42, v38, vcc_lo
	s_wait_loadcnt 0x2
	v_mul_f32_e32 v39, v13, v20
	s_wait_dscnt 0x1
	v_mul_f32_e32 v20, v27, v20
	v_lshlrev_b64_e32 v[2:3], 3, v[3:4]
	v_mul_f32_e32 v4, v14, v18
	v_lshlrev_b64_e32 v[31:32], 3, v[31:32]
	;; [unrolled: 2-line block ×3, first 2 shown]
	s_wait_loadcnt 0x1
	v_dual_mul_f32 v40, v12, v22 :: v_dual_fmac_f32 v39, v27, v19
	v_fma_f32 v13, v13, v19, -v20
	v_add_co_u32 v31, vcc_lo, v41, v31
	s_wait_alu 0xfffd
	v_add_co_ci_u32_e32 v32, vcc_lo, v42, v32, vcc_lo
	v_add_co_u32 v35, vcc_lo, v41, v35
	s_wait_alu 0xfffd
	v_add_co_ci_u32_e32 v36, vcc_lo, v42, v36, vcc_lo
	v_add_co_u32 v2, vcc_lo, v41, v2
	s_wait_loadcnt 0x0
	v_mul_f32_e32 v41, v11, v16
	v_fma_f32 v14, v14, v17, -v18
	s_wait_dscnt 0x0
	v_mul_f32_e32 v16, v29, v16
	v_dual_mul_f32 v22, v30, v22 :: v_dual_sub_f32 v13, v9, v13
	v_fmac_f32_e32 v41, v29, v15
	s_wait_alu 0xfffd
	v_add_co_ci_u32_e32 v3, vcc_lo, v42, v3, vcc_lo
	v_fma_f32 v15, v11, v15, -v16
	v_fma_f32 v19, v12, v21, -v22
	v_fmac_f32_e32 v40, v30, v21
	v_fmac_f32_e32 v4, v28, v17
	v_sub_f32_e32 v18, v23, v41
	v_sub_f32_e32 v17, v7, v15
	;; [unrolled: 1-line block ×5, first 2 shown]
	v_dual_sub_f32 v11, v10, v14 :: v_dual_sub_f32 v14, v25, v39
	v_fma_f32 v22, v23, 2.0, -v18
	v_fma_f32 v21, v7, 2.0, -v17
	;; [unrolled: 1-line block ×8, first 2 shown]
	s_clause 0x7
	global_store_b64 v[5:6], v[21:22], off
	global_store_b64 v[5:6], v[17:18], off offset:7392
	global_store_b64 v[0:1], v[23:24], off
	global_store_b64 v[31:32], v[15:16], off
	global_store_b64 v[33:34], v[7:8], off
	global_store_b64 v[35:36], v[13:14], off
	global_store_b64 v[37:38], v[19:20], off
	global_store_b64 v[2:3], v[11:12], off
.LBB0_37:
	s_nop 0
	s_sendmsg sendmsg(MSG_DEALLOC_VGPRS)
	s_endpgm
	.section	.rodata,"a",@progbits
	.p2align	6, 0x0
	.amdhsa_kernel fft_rtc_fwd_len1848_factors_3_11_7_4_2_wgs_231_tpt_231_halfLds_sp_op_CI_CI_unitstride_sbrr_dirReg
		.amdhsa_group_segment_fixed_size 0
		.amdhsa_private_segment_fixed_size 0
		.amdhsa_kernarg_size 104
		.amdhsa_user_sgpr_count 2
		.amdhsa_user_sgpr_dispatch_ptr 0
		.amdhsa_user_sgpr_queue_ptr 0
		.amdhsa_user_sgpr_kernarg_segment_ptr 1
		.amdhsa_user_sgpr_dispatch_id 0
		.amdhsa_user_sgpr_private_segment_size 0
		.amdhsa_wavefront_size32 1
		.amdhsa_uses_dynamic_stack 0
		.amdhsa_enable_private_segment 0
		.amdhsa_system_sgpr_workgroup_id_x 1
		.amdhsa_system_sgpr_workgroup_id_y 0
		.amdhsa_system_sgpr_workgroup_id_z 0
		.amdhsa_system_sgpr_workgroup_info 0
		.amdhsa_system_vgpr_workitem_id 0
		.amdhsa_next_free_vgpr 84
		.amdhsa_next_free_sgpr 39
		.amdhsa_reserve_vcc 1
		.amdhsa_float_round_mode_32 0
		.amdhsa_float_round_mode_16_64 0
		.amdhsa_float_denorm_mode_32 3
		.amdhsa_float_denorm_mode_16_64 3
		.amdhsa_fp16_overflow 0
		.amdhsa_workgroup_processor_mode 1
		.amdhsa_memory_ordered 1
		.amdhsa_forward_progress 0
		.amdhsa_round_robin_scheduling 0
		.amdhsa_exception_fp_ieee_invalid_op 0
		.amdhsa_exception_fp_denorm_src 0
		.amdhsa_exception_fp_ieee_div_zero 0
		.amdhsa_exception_fp_ieee_overflow 0
		.amdhsa_exception_fp_ieee_underflow 0
		.amdhsa_exception_fp_ieee_inexact 0
		.amdhsa_exception_int_div_zero 0
	.end_amdhsa_kernel
	.text
.Lfunc_end0:
	.size	fft_rtc_fwd_len1848_factors_3_11_7_4_2_wgs_231_tpt_231_halfLds_sp_op_CI_CI_unitstride_sbrr_dirReg, .Lfunc_end0-fft_rtc_fwd_len1848_factors_3_11_7_4_2_wgs_231_tpt_231_halfLds_sp_op_CI_CI_unitstride_sbrr_dirReg
                                        ; -- End function
	.section	.AMDGPU.csdata,"",@progbits
; Kernel info:
; codeLenInByte = 9032
; NumSgprs: 41
; NumVgprs: 84
; ScratchSize: 0
; MemoryBound: 0
; FloatMode: 240
; IeeeMode: 1
; LDSByteSize: 0 bytes/workgroup (compile time only)
; SGPRBlocks: 5
; VGPRBlocks: 10
; NumSGPRsForWavesPerEU: 41
; NumVGPRsForWavesPerEU: 84
; Occupancy: 16
; WaveLimiterHint : 1
; COMPUTE_PGM_RSRC2:SCRATCH_EN: 0
; COMPUTE_PGM_RSRC2:USER_SGPR: 2
; COMPUTE_PGM_RSRC2:TRAP_HANDLER: 0
; COMPUTE_PGM_RSRC2:TGID_X_EN: 1
; COMPUTE_PGM_RSRC2:TGID_Y_EN: 0
; COMPUTE_PGM_RSRC2:TGID_Z_EN: 0
; COMPUTE_PGM_RSRC2:TIDIG_COMP_CNT: 0
	.text
	.p2alignl 7, 3214868480
	.fill 96, 4, 3214868480
	.type	__hip_cuid_621bf5f99c5b864c,@object ; @__hip_cuid_621bf5f99c5b864c
	.section	.bss,"aw",@nobits
	.globl	__hip_cuid_621bf5f99c5b864c
__hip_cuid_621bf5f99c5b864c:
	.byte	0                               ; 0x0
	.size	__hip_cuid_621bf5f99c5b864c, 1

	.ident	"AMD clang version 19.0.0git (https://github.com/RadeonOpenCompute/llvm-project roc-6.4.0 25133 c7fe45cf4b819c5991fe208aaa96edf142730f1d)"
	.section	".note.GNU-stack","",@progbits
	.addrsig
	.addrsig_sym __hip_cuid_621bf5f99c5b864c
	.amdgpu_metadata
---
amdhsa.kernels:
  - .args:
      - .actual_access:  read_only
        .address_space:  global
        .offset:         0
        .size:           8
        .value_kind:     global_buffer
      - .offset:         8
        .size:           8
        .value_kind:     by_value
      - .actual_access:  read_only
        .address_space:  global
        .offset:         16
        .size:           8
        .value_kind:     global_buffer
      - .actual_access:  read_only
        .address_space:  global
        .offset:         24
        .size:           8
        .value_kind:     global_buffer
      - .actual_access:  read_only
        .address_space:  global
        .offset:         32
        .size:           8
        .value_kind:     global_buffer
      - .offset:         40
        .size:           8
        .value_kind:     by_value
      - .actual_access:  read_only
        .address_space:  global
        .offset:         48
        .size:           8
        .value_kind:     global_buffer
      - .actual_access:  read_only
        .address_space:  global
        .offset:         56
        .size:           8
        .value_kind:     global_buffer
      - .offset:         64
        .size:           4
        .value_kind:     by_value
      - .actual_access:  read_only
        .address_space:  global
        .offset:         72
        .size:           8
        .value_kind:     global_buffer
      - .actual_access:  read_only
        .address_space:  global
        .offset:         80
        .size:           8
        .value_kind:     global_buffer
      - .actual_access:  read_only
        .address_space:  global
        .offset:         88
        .size:           8
        .value_kind:     global_buffer
      - .actual_access:  write_only
        .address_space:  global
        .offset:         96
        .size:           8
        .value_kind:     global_buffer
    .group_segment_fixed_size: 0
    .kernarg_segment_align: 8
    .kernarg_segment_size: 104
    .language:       OpenCL C
    .language_version:
      - 2
      - 0
    .max_flat_workgroup_size: 231
    .name:           fft_rtc_fwd_len1848_factors_3_11_7_4_2_wgs_231_tpt_231_halfLds_sp_op_CI_CI_unitstride_sbrr_dirReg
    .private_segment_fixed_size: 0
    .sgpr_count:     41
    .sgpr_spill_count: 0
    .symbol:         fft_rtc_fwd_len1848_factors_3_11_7_4_2_wgs_231_tpt_231_halfLds_sp_op_CI_CI_unitstride_sbrr_dirReg.kd
    .uniform_work_group_size: 1
    .uses_dynamic_stack: false
    .vgpr_count:     84
    .vgpr_spill_count: 0
    .wavefront_size: 32
    .workgroup_processor_mode: 1
amdhsa.target:   amdgcn-amd-amdhsa--gfx1201
amdhsa.version:
  - 1
  - 2
...

	.end_amdgpu_metadata
